;; amdgpu-corpus repo=ROCm/rocFFT kind=compiled arch=gfx906 opt=O3
	.text
	.amdgcn_target "amdgcn-amd-amdhsa--gfx906"
	.amdhsa_code_object_version 6
	.protected	fft_rtc_back_len350_factors_5_7_10_wgs_50_tpt_50_half_op_CI_CI_unitstride_sbrr_R2C_dirReg ; -- Begin function fft_rtc_back_len350_factors_5_7_10_wgs_50_tpt_50_half_op_CI_CI_unitstride_sbrr_R2C_dirReg
	.globl	fft_rtc_back_len350_factors_5_7_10_wgs_50_tpt_50_half_op_CI_CI_unitstride_sbrr_R2C_dirReg
	.p2align	8
	.type	fft_rtc_back_len350_factors_5_7_10_wgs_50_tpt_50_half_op_CI_CI_unitstride_sbrr_R2C_dirReg,@function
fft_rtc_back_len350_factors_5_7_10_wgs_50_tpt_50_half_op_CI_CI_unitstride_sbrr_R2C_dirReg: ; @fft_rtc_back_len350_factors_5_7_10_wgs_50_tpt_50_half_op_CI_CI_unitstride_sbrr_R2C_dirReg
; %bb.0:
	s_load_dwordx4 s[8:11], s[4:5], 0x58
	s_load_dwordx4 s[12:15], s[4:5], 0x0
	;; [unrolled: 1-line block ×3, first 2 shown]
	v_mul_u32_u24_e32 v1, 0x51f, v0
	v_mov_b32_e32 v5, 0
	v_mov_b32_e32 v8, 0
	s_waitcnt lgkmcnt(0)
	v_cmp_lt_u64_e64 s[0:1], s[14:15], 2
	v_add_u32_sdwa v10, s6, v1 dst_sel:DWORD dst_unused:UNUSED_PAD src0_sel:DWORD src1_sel:WORD_1
	v_mov_b32_e32 v11, v5
	s_and_b64 vcc, exec, s[0:1]
	v_mov_b32_e32 v9, 0
	s_cbranch_vccnz .LBB0_8
; %bb.1:
	s_load_dwordx2 s[0:1], s[4:5], 0x10
	s_add_u32 s2, s18, 8
	s_addc_u32 s3, s19, 0
	s_add_u32 s6, s16, 8
	s_addc_u32 s7, s17, 0
	v_mov_b32_e32 v8, 0
	s_waitcnt lgkmcnt(0)
	s_add_u32 s20, s0, 8
	v_mov_b32_e32 v9, 0
	v_mov_b32_e32 v1, v8
	s_addc_u32 s21, s1, 0
	s_mov_b64 s[22:23], 1
	v_mov_b32_e32 v2, v9
.LBB0_2:                                ; =>This Inner Loop Header: Depth=1
	s_load_dwordx2 s[24:25], s[20:21], 0x0
                                        ; implicit-def: $vgpr3_vgpr4
	s_waitcnt lgkmcnt(0)
	v_or_b32_e32 v6, s25, v11
	v_cmp_ne_u64_e32 vcc, 0, v[5:6]
	s_and_saveexec_b64 s[0:1], vcc
	s_xor_b64 s[26:27], exec, s[0:1]
	s_cbranch_execz .LBB0_4
; %bb.3:                                ;   in Loop: Header=BB0_2 Depth=1
	v_cvt_f32_u32_e32 v3, s24
	v_cvt_f32_u32_e32 v4, s25
	s_sub_u32 s0, 0, s24
	s_subb_u32 s1, 0, s25
	v_mac_f32_e32 v3, 0x4f800000, v4
	v_rcp_f32_e32 v3, v3
	v_mul_f32_e32 v3, 0x5f7ffffc, v3
	v_mul_f32_e32 v4, 0x2f800000, v3
	v_trunc_f32_e32 v4, v4
	v_mac_f32_e32 v3, 0xcf800000, v4
	v_cvt_u32_f32_e32 v4, v4
	v_cvt_u32_f32_e32 v3, v3
	v_mul_lo_u32 v6, s0, v4
	v_mul_hi_u32 v7, s0, v3
	v_mul_lo_u32 v13, s1, v3
	v_mul_lo_u32 v12, s0, v3
	v_add_u32_e32 v6, v7, v6
	v_add_u32_e32 v6, v6, v13
	v_mul_hi_u32 v7, v3, v12
	v_mul_lo_u32 v13, v3, v6
	v_mul_hi_u32 v15, v3, v6
	v_mul_hi_u32 v14, v4, v12
	v_mul_lo_u32 v12, v4, v12
	v_mul_hi_u32 v16, v4, v6
	v_add_co_u32_e32 v7, vcc, v7, v13
	v_addc_co_u32_e32 v13, vcc, 0, v15, vcc
	v_mul_lo_u32 v6, v4, v6
	v_add_co_u32_e32 v7, vcc, v7, v12
	v_addc_co_u32_e32 v7, vcc, v13, v14, vcc
	v_addc_co_u32_e32 v12, vcc, 0, v16, vcc
	v_add_co_u32_e32 v6, vcc, v7, v6
	v_addc_co_u32_e32 v7, vcc, 0, v12, vcc
	v_add_co_u32_e32 v3, vcc, v3, v6
	v_addc_co_u32_e32 v4, vcc, v4, v7, vcc
	v_mul_lo_u32 v6, s0, v4
	v_mul_hi_u32 v7, s0, v3
	v_mul_lo_u32 v12, s1, v3
	v_mul_lo_u32 v13, s0, v3
	v_add_u32_e32 v6, v7, v6
	v_add_u32_e32 v6, v6, v12
	v_mul_lo_u32 v14, v3, v6
	v_mul_hi_u32 v15, v3, v13
	v_mul_hi_u32 v16, v3, v6
	v_mul_hi_u32 v12, v4, v13
	v_mul_lo_u32 v13, v4, v13
	v_mul_hi_u32 v7, v4, v6
	v_add_co_u32_e32 v14, vcc, v15, v14
	v_addc_co_u32_e32 v15, vcc, 0, v16, vcc
	v_mul_lo_u32 v6, v4, v6
	v_add_co_u32_e32 v13, vcc, v14, v13
	v_addc_co_u32_e32 v12, vcc, v15, v12, vcc
	v_addc_co_u32_e32 v7, vcc, 0, v7, vcc
	v_add_co_u32_e32 v6, vcc, v12, v6
	v_addc_co_u32_e32 v7, vcc, 0, v7, vcc
	v_add_co_u32_e32 v6, vcc, v3, v6
	v_addc_co_u32_e32 v7, vcc, v4, v7, vcc
	v_mad_u64_u32 v[3:4], s[0:1], v10, v7, 0
	v_mul_hi_u32 v12, v10, v6
	v_add_co_u32_e32 v12, vcc, v12, v3
	v_addc_co_u32_e32 v13, vcc, 0, v4, vcc
	v_mad_u64_u32 v[3:4], s[0:1], v11, v6, 0
	v_mad_u64_u32 v[6:7], s[0:1], v11, v7, 0
	v_add_co_u32_e32 v3, vcc, v12, v3
	v_addc_co_u32_e32 v3, vcc, v13, v4, vcc
	v_addc_co_u32_e32 v4, vcc, 0, v7, vcc
	v_add_co_u32_e32 v6, vcc, v3, v6
	v_addc_co_u32_e32 v7, vcc, 0, v4, vcc
	v_mul_lo_u32 v12, s25, v6
	v_mul_lo_u32 v13, s24, v7
	v_mad_u64_u32 v[3:4], s[0:1], s24, v6, 0
	v_add3_u32 v4, v4, v13, v12
	v_sub_u32_e32 v12, v11, v4
	v_mov_b32_e32 v13, s25
	v_sub_co_u32_e32 v3, vcc, v10, v3
	v_subb_co_u32_e64 v12, s[0:1], v12, v13, vcc
	v_subrev_co_u32_e64 v13, s[0:1], s24, v3
	v_subbrev_co_u32_e64 v12, s[0:1], 0, v12, s[0:1]
	v_cmp_le_u32_e64 s[0:1], s25, v12
	v_cndmask_b32_e64 v14, 0, -1, s[0:1]
	v_cmp_le_u32_e64 s[0:1], s24, v13
	v_cndmask_b32_e64 v13, 0, -1, s[0:1]
	v_cmp_eq_u32_e64 s[0:1], s25, v12
	v_cndmask_b32_e64 v12, v14, v13, s[0:1]
	v_add_co_u32_e64 v13, s[0:1], 2, v6
	v_addc_co_u32_e64 v14, s[0:1], 0, v7, s[0:1]
	v_add_co_u32_e64 v15, s[0:1], 1, v6
	v_addc_co_u32_e64 v16, s[0:1], 0, v7, s[0:1]
	v_subb_co_u32_e32 v4, vcc, v11, v4, vcc
	v_cmp_ne_u32_e64 s[0:1], 0, v12
	v_cmp_le_u32_e32 vcc, s25, v4
	v_cndmask_b32_e64 v12, v16, v14, s[0:1]
	v_cndmask_b32_e64 v14, 0, -1, vcc
	v_cmp_le_u32_e32 vcc, s24, v3
	v_cndmask_b32_e64 v3, 0, -1, vcc
	v_cmp_eq_u32_e32 vcc, s25, v4
	v_cndmask_b32_e32 v3, v14, v3, vcc
	v_cmp_ne_u32_e32 vcc, 0, v3
	v_cndmask_b32_e64 v3, v15, v13, s[0:1]
	v_cndmask_b32_e32 v4, v7, v12, vcc
	v_cndmask_b32_e32 v3, v6, v3, vcc
.LBB0_4:                                ;   in Loop: Header=BB0_2 Depth=1
	s_andn2_saveexec_b64 s[0:1], s[26:27]
	s_cbranch_execz .LBB0_6
; %bb.5:                                ;   in Loop: Header=BB0_2 Depth=1
	v_cvt_f32_u32_e32 v3, s24
	s_sub_i32 s26, 0, s24
	v_rcp_iflag_f32_e32 v3, v3
	v_mul_f32_e32 v3, 0x4f7ffffe, v3
	v_cvt_u32_f32_e32 v3, v3
	v_mul_lo_u32 v4, s26, v3
	v_mul_hi_u32 v4, v3, v4
	v_add_u32_e32 v3, v3, v4
	v_mul_hi_u32 v3, v10, v3
	v_mul_lo_u32 v4, v3, s24
	v_add_u32_e32 v6, 1, v3
	v_sub_u32_e32 v4, v10, v4
	v_subrev_u32_e32 v7, s24, v4
	v_cmp_le_u32_e32 vcc, s24, v4
	v_cndmask_b32_e32 v4, v4, v7, vcc
	v_cndmask_b32_e32 v3, v3, v6, vcc
	v_add_u32_e32 v6, 1, v3
	v_cmp_le_u32_e32 vcc, s24, v4
	v_cndmask_b32_e32 v3, v3, v6, vcc
	v_mov_b32_e32 v4, v5
.LBB0_6:                                ;   in Loop: Header=BB0_2 Depth=1
	s_or_b64 exec, exec, s[0:1]
	v_mul_lo_u32 v12, v4, s24
	v_mul_lo_u32 v13, v3, s25
	v_mad_u64_u32 v[6:7], s[0:1], v3, s24, 0
	s_load_dwordx2 s[0:1], s[6:7], 0x0
	s_load_dwordx2 s[24:25], s[2:3], 0x0
	v_add3_u32 v7, v7, v13, v12
	v_sub_co_u32_e32 v6, vcc, v10, v6
	v_subb_co_u32_e32 v7, vcc, v11, v7, vcc
	s_waitcnt lgkmcnt(0)
	v_mul_lo_u32 v10, s0, v7
	v_mul_lo_u32 v11, s1, v6
	v_mad_u64_u32 v[8:9], s[0:1], s0, v6, v[8:9]
	v_mul_lo_u32 v7, s24, v7
	v_mul_lo_u32 v12, s25, v6
	v_mad_u64_u32 v[1:2], s[0:1], s24, v6, v[1:2]
	s_add_u32 s22, s22, 1
	s_addc_u32 s23, s23, 0
	s_add_u32 s2, s2, 8
	v_add3_u32 v2, v12, v2, v7
	s_addc_u32 s3, s3, 0
	v_mov_b32_e32 v6, s14
	s_add_u32 s6, s6, 8
	v_mov_b32_e32 v7, s15
	s_addc_u32 s7, s7, 0
	v_cmp_ge_u64_e32 vcc, s[22:23], v[6:7]
	s_add_u32 s20, s20, 8
	v_add3_u32 v9, v11, v9, v10
	s_addc_u32 s21, s21, 0
	s_cbranch_vccnz .LBB0_9
; %bb.7:                                ;   in Loop: Header=BB0_2 Depth=1
	v_mov_b32_e32 v11, v4
	v_mov_b32_e32 v10, v3
	s_branch .LBB0_2
.LBB0_8:
	v_mov_b32_e32 v1, v8
	v_mov_b32_e32 v3, v10
	;; [unrolled: 1-line block ×4, first 2 shown]
.LBB0_9:
	s_load_dwordx2 s[0:1], s[4:5], 0x28
	s_lshl_b64 s[6:7], s[14:15], 3
	s_add_u32 s2, s18, s6
	s_addc_u32 s3, s19, s7
                                        ; implicit-def: $vgpr5
                                        ; implicit-def: $vgpr7
	s_waitcnt lgkmcnt(0)
	v_cmp_gt_u64_e32 vcc, s[0:1], v[3:4]
	v_cmp_le_u64_e64 s[0:1], s[0:1], v[3:4]
	s_and_saveexec_b64 s[4:5], s[0:1]
	s_xor_b64 s[0:1], exec, s[4:5]
; %bb.10:
	s_mov_b32 s4, 0x51eb852
	v_mul_hi_u32 v5, v0, s4
                                        ; implicit-def: $vgpr8_vgpr9
	v_mul_u32_u24_e32 v5, 50, v5
	v_sub_u32_e32 v5, v0, v5
	v_add_u32_e32 v7, 50, v5
                                        ; implicit-def: $vgpr0
; %bb.11:
	s_andn2_saveexec_b64 s[4:5], s[0:1]
	s_cbranch_execz .LBB0_13
; %bb.12:
	s_add_u32 s0, s16, s6
	s_addc_u32 s1, s17, s7
	s_load_dwordx2 s[0:1], s[0:1], 0x0
	s_mov_b32 s6, 0x51eb852
	v_mul_hi_u32 v5, v0, s6
	s_waitcnt lgkmcnt(0)
	v_mul_lo_u32 v10, s1, v3
	v_mul_lo_u32 v11, s0, v4
	v_mad_u64_u32 v[6:7], s[0:1], s0, v3, 0
	v_mul_u32_u24_e32 v5, 50, v5
	v_sub_u32_e32 v5, v0, v5
	v_add3_u32 v7, v7, v11, v10
	v_lshlrev_b64 v[6:7], 2, v[6:7]
	v_mov_b32_e32 v0, s9
	v_add_co_u32_e64 v10, s[0:1], s8, v6
	v_addc_co_u32_e64 v0, s[0:1], v0, v7, s[0:1]
	v_lshlrev_b64 v[6:7], 2, v[8:9]
	v_lshlrev_b32_e32 v8, 2, v5
	v_add_co_u32_e64 v6, s[0:1], v10, v6
	v_addc_co_u32_e64 v0, s[0:1], v0, v7, s[0:1]
	v_add_co_u32_e64 v6, s[0:1], v6, v8
	v_addc_co_u32_e64 v7, s[0:1], 0, v0, s[0:1]
	global_load_dword v0, v[6:7], off
	global_load_dword v9, v[6:7], off offset:200
	global_load_dword v10, v[6:7], off offset:400
	;; [unrolled: 1-line block ×6, first 2 shown]
	v_add_u32_e32 v7, 50, v5
	v_add_u32_e32 v6, 0, v8
	s_waitcnt vmcnt(5)
	ds_write2_b32 v6, v0, v9 offset1:50
	s_waitcnt vmcnt(3)
	ds_write2_b32 v6, v10, v11 offset0:100 offset1:150
	s_waitcnt vmcnt(1)
	ds_write2_b32 v6, v12, v13 offset0:200 offset1:250
	s_waitcnt vmcnt(0)
	ds_write_b32 v6, v14 offset:1200
.LBB0_13:
	s_or_b64 exec, exec, s[4:5]
	v_lshl_add_u32 v0, v5, 2, 0
	v_add_u32_e32 v8, 0x200, v0
	v_add_u32_e32 v6, 0x400, v0
	s_load_dwordx2 s[2:3], s[2:3], 0x0
	s_waitcnt lgkmcnt(0)
	; wave barrier
	s_waitcnt lgkmcnt(0)
	ds_read2_b32 v[9:10], v0 offset1:50
	ds_read2_b32 v[11:12], v0 offset0:70 offset1:120
	ds_read2_b32 v[13:14], v0 offset0:140 offset1:190
	;; [unrolled: 1-line block ×4, first 2 shown]
	s_movk_i32 s0, 0x3b9c
	s_movk_i32 s6, 0x38b4
	s_waitcnt lgkmcnt(2)
	v_pk_add_f16 v22, v11, v13 neg_lo:[0,1] neg_hi:[0,1]
	s_waitcnt lgkmcnt(1)
	v_pk_add_f16 v6, v13, v15
	s_waitcnt lgkmcnt(0)
	v_pk_add_f16 v19, v11, v17 neg_lo:[0,1] neg_hi:[0,1]
	v_pk_fma_f16 v6, v6, 0.5, v9 op_sel_hi:[1,0,1] neg_lo:[1,0,0] neg_hi:[1,0,0]
	v_pk_mul_f16 v20, v19, s0 op_sel_hi:[1,0]
	v_pk_add_f16 v21, v13, v15 neg_lo:[0,1] neg_hi:[0,1]
	v_pk_add_f16 v23, v17, v15 neg_lo:[0,1] neg_hi:[0,1]
	v_pk_add_f16 v22, v22, v23
	v_pk_add_f16 v23, v6, v20 op_sel:[0,1] op_sel_hi:[1,0] neg_lo:[0,1] neg_hi:[0,1]
	v_pk_add_f16 v6, v6, v20 op_sel:[0,1] op_sel_hi:[1,0]
	v_pk_mul_f16 v20, v21, s6 op_sel_hi:[1,0]
	v_pk_add_f16 v23, v23, v20 op_sel:[0,1] op_sel_hi:[1,0] neg_lo:[0,1] neg_hi:[0,1]
	v_pk_add_f16 v6, v6, v20 op_sel:[0,1] op_sel_hi:[1,0]
	v_pk_add_f16 v20, v9, v11
	v_pk_add_f16 v20, v20, v13
	v_pk_add_f16 v13, v13, v11 neg_lo:[0,1] neg_hi:[0,1]
	v_pk_add_f16 v11, v11, v17
	v_pk_add_f16 v20, v20, v15
	v_pk_add_f16 v15, v15, v17 neg_lo:[0,1] neg_hi:[0,1]
	v_pk_fma_f16 v9, v11, 0.5, v9 op_sel_hi:[1,0,1] neg_lo:[1,0,0] neg_hi:[1,0,0]
	v_pk_mul_f16 v11, v21, s0 op_sel_hi:[1,0]
	v_pk_add_f16 v13, v13, v15
	v_pk_add_f16 v15, v9, v11 op_sel:[0,1] op_sel_hi:[1,0]
	v_pk_add_f16 v9, v9, v11 op_sel:[0,1] op_sel_hi:[1,0] neg_lo:[0,1] neg_hi:[0,1]
	v_pk_mul_f16 v11, v19, s6 op_sel_hi:[1,0]
	s_mov_b32 s8, 0xffff
	v_pk_add_f16 v15, v15, v11 op_sel:[0,1] op_sel_hi:[1,0] neg_lo:[0,1] neg_hi:[0,1]
	v_pk_add_f16 v9, v9, v11 op_sel:[0,1] op_sel_hi:[1,0]
	s_movk_i32 s7, 0x34f2
	v_bfi_b32 v11, s8, v15, v9
	v_bfi_b32 v9, s8, v9, v15
	;; [unrolled: 1-line block ×3, first 2 shown]
	v_lshl_add_u32 v25, v5, 4, v0
	v_pk_fma_f16 v11, v13, s7, v11 op_sel_hi:[1,0,1]
	v_pk_fma_f16 v9, v13, s7, v9 op_sel_hi:[1,0,1]
	v_bfi_b32 v6, s8, v6, v23
	s_waitcnt lgkmcnt(0)
	; wave barrier
	ds_write2_b32 v25, v11, v9 offset0:2 offset1:3
	v_pk_add_f16 v9, v14, v12 op_sel:[1,1] op_sel_hi:[0,0] neg_lo:[0,1] neg_hi:[0,1]
	v_pk_add_f16 v11, v16, v18 op_sel:[1,1] op_sel_hi:[0,0] neg_lo:[0,1] neg_hi:[0,1]
	v_pk_fma_f16 v6, v22, s7, v6 op_sel_hi:[1,0,1]
	v_pk_add_f16 v13, v12, v18 op_sel:[1,1] op_sel_hi:[0,0]
	v_pk_add_f16 v9, v9, v11
	v_pk_add_f16 v11, v14, v16 neg_lo:[0,1] neg_hi:[0,1]
	v_pk_fma_f16 v13, v13, 0.5, v10 op_sel:[0,0,1] op_sel_hi:[1,0,0] neg_lo:[1,0,0] neg_hi:[1,0,0]
	ds_write_b32 v25, v6 offset:16
	v_pk_add_f16 v6, v12, v14 op_sel:[1,1] op_sel_hi:[0,0] neg_lo:[0,1] neg_hi:[0,1]
	v_pk_add_f16 v15, v18, v16 op_sel:[1,1] op_sel_hi:[0,0] neg_lo:[0,1] neg_hi:[0,1]
	v_pk_add_f16 v20, v20, v17
	v_pk_add_f16 v17, v12, v18 neg_lo:[0,1] neg_hi:[0,1]
	v_pk_add_f16 v15, v6, v15
	v_pk_fma_f16 v6, v11, s0, v13 op_sel_hi:[1,0,1]
	v_pk_fma_f16 v13, v11, s0, v13 op_sel_hi:[1,0,1] neg_lo:[1,0,0] neg_hi:[1,0,0]
	v_pk_fma_f16 v24, v22, s7, v24 op_sel_hi:[1,0,1]
	v_pk_fma_f16 v19, v17, s6, v13 op_sel_hi:[1,0,1]
	v_pk_add_f16 v13, v14, v16 op_sel:[1,1] op_sel_hi:[0,0]
	ds_write2_b32 v25, v20, v24 offset1:1
	v_pk_fma_f16 v20, v13, 0.5, v10 op_sel:[0,0,1] op_sel_hi:[1,0,0] neg_lo:[1,0,0] neg_hi:[1,0,0]
	v_pk_fma_f16 v6, v17, s6, v6 op_sel_hi:[1,0,1] neg_lo:[1,0,0] neg_hi:[1,0,0]
	v_pk_fma_f16 v13, v17, s0, v20 op_sel_hi:[1,0,1]
	v_pk_fma_f16 v17, v17, s0, v20 op_sel_hi:[1,0,1] neg_lo:[1,0,0] neg_hi:[1,0,0]
	v_pk_fma_f16 v20, v11, s6, v13 op_sel_hi:[1,0,1]
	v_pk_fma_f16 v21, v11, s6, v17 op_sel_hi:[1,0,1] neg_lo:[1,0,0] neg_hi:[1,0,0]
	v_bfi_b32 v21, s8, v21, v20
	v_pk_fma_f16 v6, v9, s7, v6 op_sel_hi:[1,0,1]
	v_pk_fma_f16 v20, v9, s7, v19 op_sel_hi:[1,0,1]
	;; [unrolled: 1-line block ×3, first 2 shown]
	v_cmp_gt_u32_e64 s[0:1], 20, v5
	v_lshrrev_b32_e32 v9, 16, v6
	s_and_saveexec_b64 s[4:5], s[0:1]
	s_cbranch_execz .LBB0_15
; %bb.14:
	v_pk_mul_f16 v11, v11, s6 op_sel_hi:[1,0]
	v_pk_add_f16 v10, v10, v12
	v_pk_add_f16 v12, v17, v11 neg_lo:[0,1] neg_hi:[0,1]
	v_pk_add_f16 v11, v13, v11
	v_pk_mul_f16 v15, v15, s7 op_sel_hi:[1,0]
	v_pk_add_f16 v10, v10, v14
	v_bfi_b32 v11, s8, v11, v12
	v_pk_add_f16 v10, v10, v16
	v_pk_add_f16 v11, v15, v11
	v_mad_i32_i24 v21, v7, 20, 0
	v_pk_add_f16 v10, v10, v18
	v_alignbit_b32 v11, v11, v11, 16
	s_mov_b32 s0, 0x5040100
	ds_write2_b32 v21, v10, v11 offset1:1
	v_perm_b32 v10, v20, v9, s0
	v_alignbit_b32 v11, v6, v20, 16
	ds_write2_b32 v21, v10, v11 offset0:2 offset1:3
	v_alignbit_b32 v10, v19, v19, 16
	ds_write_b32 v21, v10 offset:16
.LBB0_15:
	s_or_b64 exec, exec, s[4:5]
	s_movk_i32 s0, 0xcd
	v_mul_lo_u16_sdwa v10, v5, s0 dst_sel:DWORD dst_unused:UNUSED_PAD src0_sel:BYTE_0 src1_sel:DWORD
	v_lshrrev_b16_e32 v25, 10, v10
	v_mul_lo_u16_e32 v10, 5, v25
	v_sub_u16_e32 v26, v5, v10
	v_mov_b32_e32 v10, 6
	v_mul_u32_u24_sdwa v10, v26, v10 dst_sel:DWORD dst_unused:UNUSED_PAD src0_sel:BYTE_0 src1_sel:DWORD
	v_lshlrev_b32_e32 v16, 2, v10
	s_waitcnt lgkmcnt(0)
	; wave barrier
	s_waitcnt lgkmcnt(0)
	global_load_dwordx4 v[10:13], v16, s[12:13]
	global_load_dwordx2 v[14:15], v16, s[12:13] offset:16
	v_lshl_add_u32 v18, v7, 2, 0
	ds_read2_b32 v[16:17], v0 offset0:150 offset1:200
	ds_read2_b32 v[21:22], v0 offset1:100
	ds_read2_b32 v[23:24], v8 offset0:122 offset1:172
	ds_read_b32 v8, v18
	s_movk_i32 s4, 0x39e0
	s_mov_b32 s5, 0xb9e0
	s_waitcnt lgkmcnt(3)
	v_lshrrev_b32_e32 v27, 16, v16
	v_lshrrev_b32_e32 v28, 16, v17
	s_waitcnt lgkmcnt(2)
	v_lshrrev_b32_e32 v29, 16, v22
	s_waitcnt lgkmcnt(1)
	v_lshrrev_b32_e32 v30, 16, v23
	v_lshrrev_b32_e32 v31, 16, v24
	s_waitcnt lgkmcnt(0)
	v_lshrrev_b32_e32 v32, 16, v8
	v_mul_u32_u24_e32 v25, 0x8c, v25
	s_mov_b32 s0, 0xbb00
	s_mov_b32 s1, 0xbcab
	s_movk_i32 s8, 0x2b26
	s_mov_b32 s9, 0xb574
	s_movk_i32 s6, 0x3574
	s_mov_b32 s7, 0xb70e
	s_waitcnt lgkmcnt(0)
	; wave barrier
	s_waitcnt vmcnt(1)
	v_mul_f16_sdwa v33, v12, v27 dst_sel:DWORD dst_unused:UNUSED_PAD src0_sel:WORD_1 src1_sel:DWORD
	v_mul_f16_sdwa v34, v13, v28 dst_sel:DWORD dst_unused:UNUSED_PAD src0_sel:WORD_1 src1_sel:DWORD
	;; [unrolled: 1-line block ×7, first 2 shown]
	s_waitcnt vmcnt(0)
	v_mul_f16_sdwa v41, v14, v30 dst_sel:DWORD dst_unused:UNUSED_PAD src0_sel:WORD_1 src1_sel:DWORD
	v_mul_f16_sdwa v42, v15, v31 dst_sel:DWORD dst_unused:UNUSED_PAD src0_sel:WORD_1 src1_sel:DWORD
	;; [unrolled: 1-line block ×5, first 2 shown]
	v_fma_f16 v16, v12, v16, v33
	v_fma_f16 v17, v13, v17, v34
	;; [unrolled: 1-line block ×3, first 2 shown]
	v_fma_f16 v27, v12, v27, -v35
	v_fma_f16 v28, v13, v28, -v36
	v_fma_f16 v29, v11, v29, -v39
	v_fma_f16 v22, v11, v22, v40
	v_fma_f16 v23, v14, v23, v41
	;; [unrolled: 1-line block ×3, first 2 shown]
	v_fma_f16 v30, v14, v30, -v43
	v_fma_f16 v8, v10, v32, -v38
	;; [unrolled: 1-line block ×3, first 2 shown]
	v_add_f16_e32 v11, v33, v24
	v_add_f16_e32 v12, v22, v23
	;; [unrolled: 1-line block ×3, first 2 shown]
	v_sub_f16_e32 v15, v29, v30
	v_sub_f16_e32 v31, v28, v27
	;; [unrolled: 1-line block ×3, first 2 shown]
	v_add_f16_e32 v32, v8, v10
	v_add_f16_e32 v8, v12, v11
	v_sub_f16_e32 v10, v12, v11
	v_sub_f16_e32 v11, v11, v13
	;; [unrolled: 1-line block ×3, first 2 shown]
	v_add_f16_e32 v34, v31, v15
	v_add_f16_e32 v29, v29, v30
	v_sub_f16_e32 v23, v22, v23
	v_add_f16_e32 v22, v27, v28
	v_mov_b32_e32 v27, 2
	v_sub_f16_e32 v35, v31, v15
	v_add_f16_e32 v8, v13, v8
	v_add_f16_e32 v13, v34, v14
	v_mul_f16_e32 v11, 0x3a52, v11
	v_mul_f16_e32 v34, 0x2b26, v12
	v_sub_f16_e32 v16, v17, v16
	v_add_f16_e32 v17, v29, v32
	v_lshlrev_b32_sdwa v26, v27, v26 dst_sel:DWORD dst_unused:UNUSED_PAD src0_sel:DWORD src1_sel:BYTE_0
	v_sub_f16_e32 v31, v14, v31
	v_sub_f16_e32 v15, v15, v14
	v_mul_f16_e32 v14, 0x3846, v35
	v_fma_f16 v34, v10, s4, -v34
	v_fma_f16 v36, v10, s5, -v11
	v_add_f16_e32 v10, v8, v21
	v_sub_f16_e32 v24, v33, v24
	v_add_f16_e32 v17, v22, v17
	v_add3_u32 v28, 0, v25, v26
	v_sub_f16_e32 v25, v32, v22
	v_sub_f16_e32 v27, v16, v23
	v_mul_f16_e32 v35, 0xbb00, v15
	v_fma_f16 v15, v15, s0, -v14
	v_fma_f16 v11, v12, s8, v11
	v_fma_f16 v12, v31, s9, v14
	;; [unrolled: 1-line block ×3, first 2 shown]
	v_add_f16_sdwa v21, v17, v21 dst_sel:DWORD dst_unused:UNUSED_PAD src0_sel:DWORD src1_sel:WORD_1
	v_sub_f16_e32 v26, v22, v29
	v_add_f16_e32 v22, v16, v23
	v_mul_f16_e32 v25, 0x3a52, v25
	v_mul_f16_e32 v27, 0x3846, v27
	v_sub_f16_e32 v23, v23, v24
	v_fma_f16 v35, v31, s6, -v35
	v_fma_f16 v31, v13, s7, v15
	v_fma_f16 v37, v13, s7, v12
	v_add_f16_e32 v12, v34, v8
	v_sub_f16_e32 v16, v24, v16
	v_add_f16_e32 v30, v22, v24
	v_fma_f16 v17, v17, s1, v21
	v_fma_f16 v22, v26, s8, v25
	v_sub_f16_e32 v29, v29, v32
	v_mul_f16_e32 v24, 0x2b26, v26
	v_fma_f16 v26, v23, s0, -v27
	v_mul_f16_e32 v23, 0xbb00, v23
	v_sub_f16_e32 v15, v12, v31
	v_add_f16_e32 v12, v31, v12
	v_add_f16_e32 v31, v22, v17
	v_fma_f16 v22, v16, s9, v27
	v_fma_f16 v24, v29, s4, -v24
	v_fma_f16 v25, v29, s5, -v25
	;; [unrolled: 1-line block ×3, first 2 shown]
	v_fma_f16 v35, v13, s7, v35
	v_add_f16_e32 v13, v36, v8
	v_add_f16_e32 v27, v24, v17
	;; [unrolled: 1-line block ×3, first 2 shown]
	v_fma_f16 v25, v30, s7, v26
	v_fma_f16 v16, v30, s7, v16
	v_add_f16_e32 v14, v35, v13
	v_sub_f16_e32 v24, v17, v16
	v_add_f16_e32 v23, v25, v27
	v_pack_b32_f16 v26, v14, v24
	v_pack_b32_f16 v29, v15, v23
	v_add_f16_e32 v8, v11, v8
	v_sub_f16_e32 v13, v13, v35
	v_fma_f16 v33, v30, s7, v22
	ds_write2_b32 v28, v26, v29 offset0:10 offset1:15
	v_sub_f16_e32 v26, v27, v25
	v_add_f16_e32 v25, v16, v17
	v_add_f16_e32 v11, v37, v8
	v_sub_f16_e32 v8, v8, v37
	v_pack_b32_f16 v16, v12, v26
	v_pack_b32_f16 v17, v13, v25
	v_add_f16_e32 v27, v33, v31
	v_sub_f16_e32 v22, v31, v33
	ds_write2_b32 v28, v16, v17 offset0:20 offset1:25
	v_pack_b32_f16 v16, v8, v27
	v_pack_b32_f16 v34, v10, v21
	;; [unrolled: 1-line block ×3, first 2 shown]
	ds_write_b32 v28, v16 offset:120
	v_cmp_gt_u32_e64 s[0:1], 35, v5
	v_lshrrev_b32_e32 v16, 16, v20
	v_lshrrev_b32_e32 v17, 16, v19
	ds_write2_b32 v28, v34, v35 offset1:5
	s_waitcnt lgkmcnt(0)
	; wave barrier
	s_waitcnt lgkmcnt(0)
	s_and_saveexec_b64 s[4:5], s[0:1]
	s_cbranch_execz .LBB0_17
; %bb.16:
	v_add_u32_e32 v6, 0x400, v0
	ds_read2_b32 v[10:11], v0 offset1:35
	ds_read2_b32 v[16:17], v6 offset0:24 offset1:59
	ds_read2_b32 v[14:15], v0 offset0:70 offset1:105
	;; [unrolled: 1-line block ×4, first 2 shown]
	s_waitcnt lgkmcnt(3)
	v_lshrrev_b32_e32 v6, 16, v16
	v_lshrrev_b32_e32 v21, 16, v10
	;; [unrolled: 1-line block ×4, first 2 shown]
	s_waitcnt lgkmcnt(2)
	v_lshrrev_b32_e32 v24, 16, v14
	v_lshrrev_b32_e32 v23, 16, v15
	s_waitcnt lgkmcnt(1)
	v_lshrrev_b32_e32 v26, 16, v12
	v_lshrrev_b32_e32 v25, 16, v13
	;; [unrolled: 3-line block ×3, first 2 shown]
.LBB0_17:
	s_or_b64 exec, exec, s[4:5]
	s_waitcnt lgkmcnt(0)
	; wave barrier
	s_and_saveexec_b64 s[4:5], s[0:1]
	s_cbranch_execz .LBB0_19
; %bb.18:
	v_subrev_u32_e32 v28, 35, v5
	v_cndmask_b32_e64 v28, v28, v5, s[0:1]
	v_mul_i32_i24_e32 v28, 9, v28
	v_mov_b32_e32 v29, 0
	v_lshlrev_b64 v[28:29], 2, v[28:29]
	v_mov_b32_e32 v30, s13
	v_add_co_u32_e64 v36, s[0:1], s12, v28
	v_addc_co_u32_e64 v37, s[0:1], v30, v29, s[0:1]
	global_load_dwordx4 v[28:31], v[36:37], off offset:120
	global_load_dwordx4 v[32:35], v[36:37], off offset:136
	global_load_dword v38, v[36:37], off offset:152
	s_mov_b32 s6, 0xbb9c
	s_movk_i32 s8, 0x3b9c
	s_mov_b32 s1, 0xb8b4
	s_movk_i32 s7, 0x38b4
	s_movk_i32 s0, 0x34f2
	s_mov_b32 s9, 0xba79
	s_mov_b32 s14, 0xb4f2
	s_waitcnt vmcnt(2)
	v_mul_f16_sdwa v41, v23, v30 dst_sel:DWORD dst_unused:UNUSED_PAD src0_sel:DWORD src1_sel:WORD_1
	s_waitcnt vmcnt(1)
	v_mul_f16_sdwa v40, v6, v35 dst_sel:DWORD dst_unused:UNUSED_PAD src0_sel:DWORD src1_sel:WORD_1
	;; [unrolled: 2-line block ×3, first 2 shown]
	v_mul_f16_sdwa v36, v14, v29 dst_sel:DWORD dst_unused:UNUSED_PAD src0_sel:DWORD src1_sel:WORD_1
	v_mul_f16_sdwa v37, v16, v35 dst_sel:DWORD dst_unused:UNUSED_PAD src0_sel:DWORD src1_sel:WORD_1
	;; [unrolled: 1-line block ×9, first 2 shown]
	v_fma_f16 v15, v15, v30, v41
	v_mul_f16_sdwa v41, v20, v34 dst_sel:DWORD dst_unused:UNUSED_PAD src0_sel:DWORD src1_sel:WORD_1
	v_fma_f16 v16, v16, v35, v40
	v_fma_f16 v17, v17, v38, v43
	v_mul_f16_sdwa v40, v8, v33 dst_sel:DWORD dst_unused:UNUSED_PAD src0_sel:DWORD src1_sel:WORD_1
	v_mul_f16_sdwa v43, v9, v34 dst_sel:DWORD dst_unused:UNUSED_PAD src0_sel:DWORD src1_sel:WORD_1
	v_fma_f16 v14, v14, v29, v39
	v_mul_f16_sdwa v39, v27, v33 dst_sel:DWORD dst_unused:UNUSED_PAD src0_sel:DWORD src1_sel:WORD_1
	v_fma_f16 v12, v12, v31, v45
	v_fma_f16 v13, v13, v32, v46
	v_mul_f16_sdwa v45, v22, v28 dst_sel:DWORD dst_unused:UNUSED_PAD src0_sel:DWORD src1_sel:WORD_1
	v_mul_f16_sdwa v46, v11, v28 dst_sel:DWORD dst_unused:UNUSED_PAD src0_sel:DWORD src1_sel:WORD_1
	v_fma_f16 v9, v9, v34, v41
	v_fma_f16 v24, v24, v29, -v36
	v_fma_f16 v26, v26, v31, -v47
	;; [unrolled: 1-line block ×8, first 2 shown]
	v_fma_f16 v8, v8, v33, v39
	v_fma_f16 v11, v11, v28, v45
	v_fma_f16 v22, v22, v28, -v46
	v_sub_f16_e32 v28, v24, v26
	v_sub_f16_e32 v29, v6, v27
	;; [unrolled: 1-line block ×8, first 2 shown]
	v_add_f16_e32 v40, v24, v6
	v_add_f16_e32 v43, v15, v17
	v_sub_f16_e32 v31, v12, v8
	v_sub_f16_e32 v35, v25, v20
	;; [unrolled: 1-line block ×4, first 2 shown]
	v_add_f16_e32 v28, v28, v29
	v_add_f16_e32 v29, v32, v33
	;; [unrolled: 1-line block ×4, first 2 shown]
	v_fma_f16 v37, v40, -0.5, v21
	v_fma_f16 v38, v43, -0.5, v11
	v_sub_f16_e32 v30, v14, v16
	v_sub_f16_e32 v34, v23, v19
	v_add_f16_e32 v36, v41, v42
	v_fma_f16 v40, v31, s8, v37
	v_fma_f16 v37, v31, s6, v37
	;; [unrolled: 1-line block ×4, first 2 shown]
	v_add_f16_e32 v46, v23, v19
	v_fma_f16 v40, v30, s1, v40
	v_fma_f16 v37, v30, s7, v37
	;; [unrolled: 1-line block ×8, first 2 shown]
	v_fma_f16 v38, v46, -0.5, v22
	v_sub_f16_e32 v42, v13, v9
	v_sub_f16_e32 v44, v25, v23
	;; [unrolled: 1-line block ×4, first 2 shown]
	v_fma_f16 v43, v42, s8, v38
	v_fma_f16 v38, v42, s6, v38
	v_add_f16_e32 v39, v44, v45
	v_fma_f16 v43, v41, s1, v43
	v_fma_f16 v38, v41, s7, v38
	v_fma_f16 v43, v39, s0, v43
	v_fma_f16 v38, v39, s0, v38
	v_add_f16_e32 v39, v26, v27
	v_fma_f16 v39, v39, -0.5, v21
	v_fma_f16 v44, v30, s6, v39
	v_fma_f16 v30, v30, s8, v39
	v_fma_f16 v39, v31, s1, v44
	v_fma_f16 v30, v31, s7, v30
	v_fma_f16 v31, v28, s0, v39
	v_fma_f16 v28, v28, s0, v30
	v_add_f16_e32 v30, v13, v9
	v_fma_f16 v30, v30, -0.5, v11
	v_fma_f16 v39, v34, s8, v30
	v_fma_f16 v30, v34, s6, v30
	;; [unrolled: 8-line block ×3, first 2 shown]
	v_fma_f16 v35, v42, s1, v35
	v_fma_f16 v30, v42, s7, v30
	;; [unrolled: 1-line block ×4, first 2 shown]
	v_mul_f16_e32 v32, 0xba79, v35
	v_add_f16_e32 v22, v22, v23
	v_add_f16_e32 v21, v21, v24
	v_mul_f16_e32 v35, 0xb8b4, v35
	v_fma_f16 v32, v34, s7, v32
	v_add_f16_e32 v22, v22, v25
	v_add_f16_e32 v21, v21, v26
	v_fma_f16 v34, v34, s9, v35
	v_add_f16_e32 v35, v14, v16
	v_mul_f16_e32 v25, 0xb4f2, v43
	v_add_f16_e32 v20, v22, v20
	v_add_f16_e32 v21, v21, v27
	v_sub_f16_e32 v26, v26, v27
	v_add_f16_e32 v27, v12, v8
	v_fma_f16 v35, v35, -0.5, v10
	v_mul_f16_e32 v41, 0xbb9c, v43
	v_fma_f16 v25, v37, s8, v25
	v_add_f16_e32 v19, v20, v19
	v_sub_f16_e32 v20, v14, v12
	v_add_f16_e32 v21, v21, v6
	v_sub_f16_e32 v6, v24, v6
	v_mul_f16_e32 v24, 0x34f2, v38
	v_fma_f16 v27, v27, -0.5, v10
	v_add_f16_e32 v10, v10, v14
	v_sub_f16_e32 v14, v12, v14
	v_sub_f16_e32 v39, v8, v16
	v_fma_f16 v37, v37, s14, v41
	v_fma_f16 v41, v26, s6, v35
	;; [unrolled: 1-line block ×3, first 2 shown]
	v_mul_f16_e32 v38, 0xbb9c, v38
	v_add_f16_e32 v11, v11, v15
	v_sub_f16_e32 v22, v16, v8
	v_fma_f16 v24, v36, s8, v24
	v_add_f16_e32 v14, v14, v39
	v_fma_f16 v41, v6, s7, v41
	v_fma_f16 v35, v6, s1, v35
	;; [unrolled: 1-line block ×5, first 2 shown]
	v_add_f16_e32 v10, v10, v12
	v_add_f16_e32 v11, v11, v13
	;; [unrolled: 1-line block ×3, first 2 shown]
	s_movk_i32 s9, 0x3a79
	v_fma_f16 v41, v14, s0, v41
	v_fma_f16 v14, v14, s0, v35
	v_mul_f16_e32 v35, 0x3a79, v30
	v_fma_f16 v6, v26, s1, v6
	v_mul_f16_e32 v30, 0xb8b4, v30
	v_add_f16_e32 v8, v10, v8
	v_add_f16_e32 v9, v11, v9
	v_fma_f16 v35, v29, s7, v35
	v_fma_f16 v6, v20, s0, v6
	;; [unrolled: 1-line block ×3, first 2 shown]
	v_add_f16_e32 v8, v8, v16
	v_add_f16_e32 v9, v9, v17
	v_fma_f16 v38, v26, s7, v38
	v_sub_f16_e32 v26, v21, v19
	v_sub_f16_e32 v10, v6, v29
	;; [unrolled: 1-line block ×3, first 2 shown]
	v_add_f16_e32 v17, v28, v35
	v_add_f16_e32 v19, v21, v19
	;; [unrolled: 1-line block ×4, first 2 shown]
	v_sub_f16_e32 v39, v33, v24
	v_fma_f16 v38, v20, s0, v38
	v_sub_f16_e32 v12, v14, v36
	v_add_f16_e32 v15, v40, v25
	v_add_f16_e32 v16, v33, v24
	;; [unrolled: 1-line block ×4, first 2 shown]
	v_pack_b32_f16 v8, v8, v19
	v_pack_b32_f16 v6, v6, v17
	v_add_f16_e32 v13, v31, v32
	v_add_f16_e32 v21, v38, v34
	ds_write2_b32 v0, v8, v6 offset1:35
	v_pack_b32_f16 v6, v14, v16
	v_pack_b32_f16 v8, v24, v15
	v_sub_f16_e32 v27, v28, v35
	ds_write2_b32 v0, v6, v8 offset0:70 offset1:105
	v_pack_b32_f16 v6, v21, v13
	v_pack_b32_f16 v8, v11, v26
	v_sub_f16_e32 v23, v31, v32
	v_sub_f16_e32 v22, v40, v25
	;; [unrolled: 1-line block ×4, first 2 shown]
	ds_write2_b32 v0, v6, v8 offset0:140 offset1:175
	v_pack_b32_f16 v6, v10, v27
	v_pack_b32_f16 v8, v12, v39
	ds_write2_b32 v0, v6, v8 offset0:210 offset1:245
	v_pack_b32_f16 v6, v30, v22
	v_pack_b32_f16 v8, v20, v23
	v_add_u32_e32 v9, 0x400, v0
	ds_write2_b32 v9, v6, v8 offset0:24 offset1:59
.LBB0_19:
	s_or_b64 exec, exec, s[4:5]
	s_waitcnt lgkmcnt(0)
	; wave barrier
	s_waitcnt lgkmcnt(0)
	ds_read_b32 v8, v0
	v_lshlrev_b32_e32 v6, 2, v5
	v_sub_u32_e32 v11, 0, v6
	v_cmp_ne_u32_e64 s[0:1], 0, v5
                                        ; implicit-def: $vgpr14
                                        ; implicit-def: $vgpr13
                                        ; implicit-def: $vgpr12
                                        ; implicit-def: $vgpr9_vgpr10
	s_and_saveexec_b64 s[4:5], s[0:1]
	s_xor_b64 s[4:5], exec, s[4:5]
	s_cbranch_execz .LBB0_21
; %bb.20:
	v_mov_b32_e32 v6, 0
	v_lshlrev_b64 v[9:10], 2, v[5:6]
	v_mov_b32_e32 v12, s13
	v_add_co_u32_e64 v9, s[0:1], s12, v9
	v_addc_co_u32_e64 v10, s[0:1], v12, v10, s[0:1]
	global_load_dword v9, v[9:10], off offset:1380
	ds_read_b32 v10, v11 offset:1400
	s_waitcnt lgkmcnt(0)
	v_add_f16_sdwa v12, v10, v8 dst_sel:DWORD dst_unused:UNUSED_PAD src0_sel:WORD_1 src1_sel:WORD_1
	v_sub_f16_e32 v14, v8, v10
	v_add_f16_e32 v13, v10, v8
	v_sub_f16_sdwa v8, v8, v10 dst_sel:DWORD dst_unused:UNUSED_PAD src0_sel:WORD_1 src1_sel:WORD_1
	v_mul_f16_e32 v10, 0.5, v12
	v_mul_f16_e32 v14, 0.5, v14
	;; [unrolled: 1-line block ×3, first 2 shown]
	s_waitcnt vmcnt(0)
	v_lshrrev_b32_e32 v12, 16, v9
	v_mul_f16_e32 v15, v12, v14
	v_fma_f16 v16, v10, v12, v8
	v_fma_f16 v8, v10, v12, -v8
	v_fma_f16 v17, v13, 0.5, v15
	v_fma_f16 v13, v13, 0.5, -v15
	v_fma_f16 v12, -v9, v14, v16
	v_fma_f16 v14, -v9, v14, v8
	v_fma_f16 v8, v9, v10, v17
	v_fma_f16 v13, -v9, v10, v13
	v_mov_b32_e32 v10, v6
	ds_write_b16 v0, v8
	v_mov_b32_e32 v9, v5
                                        ; implicit-def: $vgpr8
.LBB0_21:
	s_andn2_saveexec_b64 s[0:1], s[4:5]
	s_cbranch_execz .LBB0_23
; %bb.22:
	v_mov_b32_e32 v12, 0
	ds_read_u16 v6, v12 offset:702
	s_waitcnt lgkmcnt(1)
	v_add_f16_sdwa v14, v8, v8 dst_sel:DWORD dst_unused:UNUSED_PAD src0_sel:WORD_1 src1_sel:DWORD
	v_mov_b32_e32 v9, 0
	v_sub_f16_sdwa v13, v8, v8 dst_sel:DWORD dst_unused:UNUSED_PAD src0_sel:DWORD src1_sel:WORD_1
	v_mov_b32_e32 v10, 0
	ds_write_b16 v0, v14
	s_waitcnt lgkmcnt(1)
	v_xor_b32_e32 v6, 0x8000, v6
	v_mov_b32_e32 v14, 0
	ds_write_b16 v12, v6 offset:702
.LBB0_23:
	s_or_b64 exec, exec, s[0:1]
	s_waitcnt lgkmcnt(0)
	v_mov_b32_e32 v8, 0
	v_lshlrev_b64 v[6:7], 2, v[7:8]
	v_mov_b32_e32 v8, s13
	v_add_co_u32_e64 v6, s[0:1], s12, v6
	v_addc_co_u32_e64 v7, s[0:1], v8, v7, s[0:1]
	global_load_dword v8, v[6:7], off offset:1380
	s_add_u32 s0, s12, 0x564
	v_lshlrev_b64 v[6:7], 2, v[9:10]
	s_addc_u32 s1, s13, 0
	v_mov_b32_e32 v9, s1
	v_add_co_u32_e64 v6, s[0:1], s0, v6
	v_addc_co_u32_e64 v7, s[0:1], v9, v7, s[0:1]
	global_load_dword v9, v[6:7], off offset:400
	s_mov_b32 s0, 0x5040100
	v_perm_b32 v10, v14, v13, s0
	ds_write_b16 v0, v12 offset:2
	ds_write_b32 v11, v10 offset:1400
	ds_read_b32 v10, v18
	ds_read_b32 v12, v11 offset:1200
	s_mov_b32 s6, 0xffff
	v_cmp_gt_u32_e64 s[0:1], 25, v5
	s_waitcnt lgkmcnt(0)
	v_pk_add_f16 v13, v10, v12 neg_lo:[0,1] neg_hi:[0,1]
	v_pk_add_f16 v10, v10, v12
	v_bfi_b32 v12, s6, v13, v10
	v_bfi_b32 v10, s6, v10, v13
	v_pk_mul_f16 v12, v12, 0.5 op_sel_hi:[1,0]
	v_pk_mul_f16 v10, v10, 0.5 op_sel_hi:[1,0]
	s_waitcnt vmcnt(1)
	v_pk_fma_f16 v13, v8, v12, v10 op_sel:[1,0,0]
	v_pk_mul_f16 v14, v8, v12 op_sel_hi:[0,1]
	v_pk_fma_f16 v15, v8, v12, v10 op_sel:[1,0,0] neg_lo:[1,0,0] neg_hi:[1,0,0]
	v_pk_fma_f16 v8, v8, v12, v10 op_sel:[1,0,0] neg_lo:[0,0,1] neg_hi:[0,0,1]
	v_pk_add_f16 v10, v13, v14 op_sel:[0,1] op_sel_hi:[1,0]
	v_pk_add_f16 v12, v13, v14 op_sel:[0,1] op_sel_hi:[1,0] neg_lo:[0,1] neg_hi:[0,1]
	v_pk_add_f16 v13, v15, v14 op_sel:[0,1] op_sel_hi:[1,0] neg_lo:[0,1] neg_hi:[0,1]
	;; [unrolled: 1-line block ×3, first 2 shown]
	v_bfi_b32 v10, s6, v10, v12
	v_bfi_b32 v8, s6, v13, v8
	ds_write_b32 v18, v10
	ds_write_b32 v11, v8 offset:1200
	ds_read_b32 v8, v0 offset:400
	ds_read_b32 v10, v11 offset:1000
	s_waitcnt lgkmcnt(0)
	v_pk_add_f16 v12, v8, v10 neg_lo:[0,1] neg_hi:[0,1]
	v_pk_add_f16 v8, v8, v10
	v_bfi_b32 v10, s6, v12, v8
	v_bfi_b32 v8, s6, v8, v12
	v_pk_mul_f16 v10, v10, 0.5 op_sel_hi:[1,0]
	v_pk_mul_f16 v8, v8, 0.5 op_sel_hi:[1,0]
	s_waitcnt vmcnt(0)
	v_pk_fma_f16 v12, v9, v10, v8 op_sel:[1,0,0]
	v_pk_mul_f16 v13, v9, v10 op_sel_hi:[0,1]
	v_pk_fma_f16 v14, v9, v10, v8 op_sel:[1,0,0] neg_lo:[1,0,0] neg_hi:[1,0,0]
	v_pk_fma_f16 v8, v9, v10, v8 op_sel:[1,0,0] neg_lo:[0,0,1] neg_hi:[0,0,1]
	v_pk_add_f16 v9, v12, v13 op_sel:[0,1] op_sel_hi:[1,0]
	v_pk_add_f16 v10, v12, v13 op_sel:[0,1] op_sel_hi:[1,0] neg_lo:[0,1] neg_hi:[0,1]
	v_pk_add_f16 v12, v14, v13 op_sel:[0,1] op_sel_hi:[1,0] neg_lo:[0,1] neg_hi:[0,1]
	;; [unrolled: 1-line block ×3, first 2 shown]
	v_bfi_b32 v9, s6, v9, v10
	v_bfi_b32 v8, s6, v12, v8
	ds_write_b32 v0, v9 offset:400
	ds_write_b32 v11, v8 offset:1000
	s_and_saveexec_b64 s[4:5], s[0:1]
	s_cbranch_execz .LBB0_25
; %bb.24:
	global_load_dword v6, v[6:7], off offset:600
	ds_read_b32 v7, v0 offset:600
	ds_read_b32 v8, v11 offset:800
	s_waitcnt lgkmcnt(0)
	v_pk_add_f16 v9, v7, v8 neg_lo:[0,1] neg_hi:[0,1]
	v_pk_add_f16 v7, v7, v8
	v_bfi_b32 v8, s6, v9, v7
	v_bfi_b32 v7, s6, v7, v9
	v_pk_mul_f16 v8, v8, 0.5 op_sel_hi:[1,0]
	v_pk_mul_f16 v7, v7, 0.5 op_sel_hi:[1,0]
	s_waitcnt vmcnt(0)
	v_pk_fma_f16 v9, v6, v8, v7 op_sel:[1,0,0]
	v_pk_mul_f16 v10, v6, v8 op_sel_hi:[0,1]
	v_pk_fma_f16 v12, v6, v8, v7 op_sel:[1,0,0] neg_lo:[1,0,0] neg_hi:[1,0,0]
	v_pk_fma_f16 v6, v6, v8, v7 op_sel:[1,0,0] neg_lo:[0,0,1] neg_hi:[0,0,1]
	v_pk_add_f16 v7, v9, v10 op_sel:[0,1] op_sel_hi:[1,0]
	v_pk_add_f16 v8, v9, v10 op_sel:[0,1] op_sel_hi:[1,0] neg_lo:[0,1] neg_hi:[0,1]
	v_pk_add_f16 v9, v12, v10 op_sel:[0,1] op_sel_hi:[1,0] neg_lo:[0,1] neg_hi:[0,1]
	;; [unrolled: 1-line block ×3, first 2 shown]
	v_bfi_b32 v7, s6, v7, v8
	v_bfi_b32 v6, s6, v9, v6
	ds_write_b32 v0, v7 offset:600
	ds_write_b32 v11, v6 offset:800
.LBB0_25:
	s_or_b64 exec, exec, s[4:5]
	s_waitcnt lgkmcnt(0)
	; wave barrier
	s_waitcnt lgkmcnt(0)
	s_and_saveexec_b64 s[0:1], vcc
	s_cbranch_execz .LBB0_28
; %bb.26:
	v_mul_lo_u32 v0, s3, v3
	v_mul_lo_u32 v6, s2, v4
	v_mad_u64_u32 v[3:4], s[0:1], s2, v3, 0
	v_lshl_add_u32 v9, v5, 2, 0
	ds_read2_b32 v[7:8], v9 offset1:50
	v_add3_u32 v4, v4, v6, v0
	v_lshlrev_b64 v[3:4], 2, v[3:4]
	v_mov_b32_e32 v0, s11
	v_add_co_u32_e32 v3, vcc, s10, v3
	v_addc_co_u32_e32 v4, vcc, v0, v4, vcc
	v_lshlrev_b64 v[0:1], 2, v[1:2]
	v_mov_b32_e32 v6, 0
	v_add_co_u32_e32 v0, vcc, v3, v0
	v_lshlrev_b64 v[2:3], 2, v[5:6]
	v_addc_co_u32_e32 v1, vcc, v4, v1, vcc
	v_add_co_u32_e32 v2, vcc, v0, v2
	v_addc_co_u32_e32 v3, vcc, v1, v3, vcc
	s_waitcnt lgkmcnt(0)
	global_store_dword v[2:3], v7, off
	v_add_u32_e32 v2, 50, v5
	v_mov_b32_e32 v3, v6
	v_lshlrev_b64 v[2:3], 2, v[2:3]
	ds_read_b32 v4, v9 offset:1200
	v_add_co_u32_e32 v2, vcc, v0, v2
	v_addc_co_u32_e32 v3, vcc, v1, v3, vcc
	global_store_dword v[2:3], v8, off
	v_add_u32_e32 v2, 0x64, v5
	v_mov_b32_e32 v3, v6
	ds_read2_b32 v[7:8], v9 offset0:100 offset1:150
	v_lshlrev_b64 v[2:3], 2, v[2:3]
	v_add_co_u32_e32 v2, vcc, v0, v2
	v_addc_co_u32_e32 v3, vcc, v1, v3, vcc
	s_waitcnt lgkmcnt(0)
	global_store_dword v[2:3], v7, off
	v_add_u32_e32 v2, 0x96, v5
	v_mov_b32_e32 v3, v6
	v_lshlrev_b64 v[2:3], 2, v[2:3]
	v_add_co_u32_e32 v2, vcc, v0, v2
	v_addc_co_u32_e32 v3, vcc, v1, v3, vcc
	global_store_dword v[2:3], v8, off
	v_add_u32_e32 v2, 0xc8, v5
	v_mov_b32_e32 v3, v6
	ds_read2_b32 v[7:8], v9 offset0:200 offset1:250
	v_lshlrev_b64 v[2:3], 2, v[2:3]
	v_add_co_u32_e32 v2, vcc, v0, v2
	v_addc_co_u32_e32 v3, vcc, v1, v3, vcc
	s_waitcnt lgkmcnt(0)
	global_store_dword v[2:3], v7, off
	v_add_u32_e32 v2, 0xfa, v5
	v_mov_b32_e32 v3, v6
	v_lshlrev_b64 v[2:3], 2, v[2:3]
	v_add_co_u32_e32 v2, vcc, v0, v2
	v_addc_co_u32_e32 v3, vcc, v1, v3, vcc
	global_store_dword v[2:3], v8, off
	v_add_u32_e32 v2, 0x12c, v5
	v_mov_b32_e32 v3, v6
	v_lshlrev_b64 v[2:3], 2, v[2:3]
	v_add_co_u32_e32 v2, vcc, v0, v2
	v_addc_co_u32_e32 v3, vcc, v1, v3, vcc
	v_cmp_eq_u32_e32 vcc, 49, v5
	global_store_dword v[2:3], v4, off
	s_and_b64 exec, exec, vcc
	s_cbranch_execz .LBB0_28
; %bb.27:
	ds_read_b32 v2, v6 offset:1400
	s_waitcnt lgkmcnt(0)
	global_store_dword v[0:1], v2, off offset:1400
.LBB0_28:
	s_endpgm
	.section	.rodata,"a",@progbits
	.p2align	6, 0x0
	.amdhsa_kernel fft_rtc_back_len350_factors_5_7_10_wgs_50_tpt_50_half_op_CI_CI_unitstride_sbrr_R2C_dirReg
		.amdhsa_group_segment_fixed_size 0
		.amdhsa_private_segment_fixed_size 0
		.amdhsa_kernarg_size 104
		.amdhsa_user_sgpr_count 6
		.amdhsa_user_sgpr_private_segment_buffer 1
		.amdhsa_user_sgpr_dispatch_ptr 0
		.amdhsa_user_sgpr_queue_ptr 0
		.amdhsa_user_sgpr_kernarg_segment_ptr 1
		.amdhsa_user_sgpr_dispatch_id 0
		.amdhsa_user_sgpr_flat_scratch_init 0
		.amdhsa_user_sgpr_private_segment_size 0
		.amdhsa_uses_dynamic_stack 0
		.amdhsa_system_sgpr_private_segment_wavefront_offset 0
		.amdhsa_system_sgpr_workgroup_id_x 1
		.amdhsa_system_sgpr_workgroup_id_y 0
		.amdhsa_system_sgpr_workgroup_id_z 0
		.amdhsa_system_sgpr_workgroup_info 0
		.amdhsa_system_vgpr_workitem_id 0
		.amdhsa_next_free_vgpr 49
		.amdhsa_next_free_sgpr 28
		.amdhsa_reserve_vcc 1
		.amdhsa_reserve_flat_scratch 0
		.amdhsa_float_round_mode_32 0
		.amdhsa_float_round_mode_16_64 0
		.amdhsa_float_denorm_mode_32 3
		.amdhsa_float_denorm_mode_16_64 3
		.amdhsa_dx10_clamp 1
		.amdhsa_ieee_mode 1
		.amdhsa_fp16_overflow 0
		.amdhsa_exception_fp_ieee_invalid_op 0
		.amdhsa_exception_fp_denorm_src 0
		.amdhsa_exception_fp_ieee_div_zero 0
		.amdhsa_exception_fp_ieee_overflow 0
		.amdhsa_exception_fp_ieee_underflow 0
		.amdhsa_exception_fp_ieee_inexact 0
		.amdhsa_exception_int_div_zero 0
	.end_amdhsa_kernel
	.text
.Lfunc_end0:
	.size	fft_rtc_back_len350_factors_5_7_10_wgs_50_tpt_50_half_op_CI_CI_unitstride_sbrr_R2C_dirReg, .Lfunc_end0-fft_rtc_back_len350_factors_5_7_10_wgs_50_tpt_50_half_op_CI_CI_unitstride_sbrr_R2C_dirReg
                                        ; -- End function
	.section	.AMDGPU.csdata,"",@progbits
; Kernel info:
; codeLenInByte = 6152
; NumSgprs: 32
; NumVgprs: 49
; ScratchSize: 0
; MemoryBound: 0
; FloatMode: 240
; IeeeMode: 1
; LDSByteSize: 0 bytes/workgroup (compile time only)
; SGPRBlocks: 3
; VGPRBlocks: 12
; NumSGPRsForWavesPerEU: 32
; NumVGPRsForWavesPerEU: 49
; Occupancy: 4
; WaveLimiterHint : 1
; COMPUTE_PGM_RSRC2:SCRATCH_EN: 0
; COMPUTE_PGM_RSRC2:USER_SGPR: 6
; COMPUTE_PGM_RSRC2:TRAP_HANDLER: 0
; COMPUTE_PGM_RSRC2:TGID_X_EN: 1
; COMPUTE_PGM_RSRC2:TGID_Y_EN: 0
; COMPUTE_PGM_RSRC2:TGID_Z_EN: 0
; COMPUTE_PGM_RSRC2:TIDIG_COMP_CNT: 0
	.type	__hip_cuid_c6dc33b248c1b4d5,@object ; @__hip_cuid_c6dc33b248c1b4d5
	.section	.bss,"aw",@nobits
	.globl	__hip_cuid_c6dc33b248c1b4d5
__hip_cuid_c6dc33b248c1b4d5:
	.byte	0                               ; 0x0
	.size	__hip_cuid_c6dc33b248c1b4d5, 1

	.ident	"AMD clang version 19.0.0git (https://github.com/RadeonOpenCompute/llvm-project roc-6.4.0 25133 c7fe45cf4b819c5991fe208aaa96edf142730f1d)"
	.section	".note.GNU-stack","",@progbits
	.addrsig
	.addrsig_sym __hip_cuid_c6dc33b248c1b4d5
	.amdgpu_metadata
---
amdhsa.kernels:
  - .args:
      - .actual_access:  read_only
        .address_space:  global
        .offset:         0
        .size:           8
        .value_kind:     global_buffer
      - .offset:         8
        .size:           8
        .value_kind:     by_value
      - .actual_access:  read_only
        .address_space:  global
        .offset:         16
        .size:           8
        .value_kind:     global_buffer
      - .actual_access:  read_only
        .address_space:  global
        .offset:         24
        .size:           8
        .value_kind:     global_buffer
      - .actual_access:  read_only
        .address_space:  global
        .offset:         32
        .size:           8
        .value_kind:     global_buffer
      - .offset:         40
        .size:           8
        .value_kind:     by_value
      - .actual_access:  read_only
        .address_space:  global
        .offset:         48
        .size:           8
        .value_kind:     global_buffer
      - .actual_access:  read_only
        .address_space:  global
        .offset:         56
        .size:           8
        .value_kind:     global_buffer
      - .offset:         64
        .size:           4
        .value_kind:     by_value
      - .actual_access:  read_only
        .address_space:  global
        .offset:         72
        .size:           8
        .value_kind:     global_buffer
      - .actual_access:  read_only
        .address_space:  global
        .offset:         80
        .size:           8
        .value_kind:     global_buffer
      - .actual_access:  read_only
        .address_space:  global
        .offset:         88
        .size:           8
        .value_kind:     global_buffer
      - .actual_access:  write_only
        .address_space:  global
        .offset:         96
        .size:           8
        .value_kind:     global_buffer
    .group_segment_fixed_size: 0
    .kernarg_segment_align: 8
    .kernarg_segment_size: 104
    .language:       OpenCL C
    .language_version:
      - 2
      - 0
    .max_flat_workgroup_size: 50
    .name:           fft_rtc_back_len350_factors_5_7_10_wgs_50_tpt_50_half_op_CI_CI_unitstride_sbrr_R2C_dirReg
    .private_segment_fixed_size: 0
    .sgpr_count:     32
    .sgpr_spill_count: 0
    .symbol:         fft_rtc_back_len350_factors_5_7_10_wgs_50_tpt_50_half_op_CI_CI_unitstride_sbrr_R2C_dirReg.kd
    .uniform_work_group_size: 1
    .uses_dynamic_stack: false
    .vgpr_count:     49
    .vgpr_spill_count: 0
    .wavefront_size: 64
amdhsa.target:   amdgcn-amd-amdhsa--gfx906
amdhsa.version:
  - 1
  - 2
...

	.end_amdgpu_metadata
